;; amdgpu-corpus repo=zjin-lcf/HeCBench kind=compiled arch=gfx1250 opt=O3
	.amdgcn_target "amdgcn-amd-amdhsa--gfx1250"
	.amdhsa_code_object_version 6
	.text
	.protected	_Z7softMaxiiPKfPf       ; -- Begin function _Z7softMaxiiPKfPf
	.globl	_Z7softMaxiiPKfPf
	.p2align	8
	.type	_Z7softMaxiiPKfPf,@function
_Z7softMaxiiPKfPf:                      ; @_Z7softMaxiiPKfPf
; %bb.0:
	s_clause 0x1
	s_load_b32 s4, s[0:1], 0x24
	s_load_b64 s[2:3], s[0:1], 0x0
	s_bfe_u32 s5, ttmp6, 0x4000c
	s_and_b32 s6, ttmp6, 15
	s_add_co_i32 s5, s5, 1
	s_getreg_b32 s7, hwreg(HW_REG_IB_STS2, 6, 4)
	s_mul_i32 s5, ttmp9, s5
	s_delay_alu instid0(SALU_CYCLE_1) | instskip(SKIP_4) | instid1(SALU_CYCLE_1)
	s_add_co_i32 s6, s6, s5
	s_wait_kmcnt 0x0
	s_and_b32 s4, s4, 0xffff
	s_cmp_eq_u32 s7, 0
	s_cselect_b32 s5, ttmp9, s6
	v_mad_u32 v0, s5, s4, v0
	s_delay_alu instid0(VALU_DEP_1)
	v_cmp_gt_i32_e32 vcc_lo, s2, v0
	s_and_saveexec_b32 s2, vcc_lo
	s_cbranch_execz .LBB0_14
; %bb.1:
	s_cmp_lt_i32 s3, 1
	s_cbranch_scc1 .LBB0_14
; %bb.2:
	s_load_b128 s[4:7], s[0:1], 0x8
	v_mul_lo_u32 v2, v0, s3
	s_cmp_eq_u32 s3, 1
	s_delay_alu instid0(VALU_DEP_1)
	v_ashrrev_i32_e32 v3, 31, v2
	s_wait_kmcnt 0x0
	global_load_b32 v8, v2, s[4:5] scale_offset
	v_lshl_add_u64 v[0:1], v[2:3], 2, s[4:5]
	s_cbranch_scc1 .LBB0_6
; %bb.3:
	s_wait_loadcnt 0x0
	v_mov_b32_e32 v7, v8
	s_and_b32 s2, s3, 0x7ffffffe
	s_mov_b32 s9, 0
	s_add_co_i32 s10, s2, -2
	s_mov_b32 s0, 0
                                        ; implicit-def: $sgpr8
.LBB0_4:                                ; =>This Inner Loop Header: Depth=1
	s_delay_alu instid0(SALU_CYCLE_1) | instskip(NEXT) | instid1(SALU_CYCLE_1)
	s_ashr_i32 s1, s0, 31
	v_lshl_add_u64 v[4:5], s[0:1], 2, v[0:1]
	s_add_co_i32 s1, s0, 2
	s_cmp_eq_u32 s10, s0
	global_load_b64 v[10:11], v[4:5], off
	s_wait_xcnt 0x0
	v_dual_mov_b32 v4, v8 :: v_dual_mov_b32 v5, v7
	v_mov_b32_e32 v6, s0
	s_cselect_b32 s0, -1, 0
	s_delay_alu instid0(VALU_DEP_2) | instskip(SKIP_4) | instid1(VALU_DEP_2)
	v_dual_max_num_f32 v12, v4, v4 :: v_dual_max_num_f32 v7, v5, v5
	s_wait_loadcnt 0x0
	v_cmp_u_f32_e32 vcc_lo, v11, v11
	v_cndmask_b32_e64 v8, 0, 1, vcc_lo
	v_cmp_u_f32_e32 vcc_lo, v10, v10
	v_lshlrev_b16 v8, 1, v8
	v_cndmask_b32_e64 v9, 0, 1, vcc_lo
	s_delay_alu instid0(VALU_DEP_1) | instskip(SKIP_1) | instid1(VALU_DEP_2)
	v_bitop3_b16 v8, v9, 3, v8 bitop3:0xc8
	v_max_num_f32_e32 v9, v11, v11
	v_cmp_ne_u16_e32 vcc_lo, 0, v8
	s_delay_alu instid0(VALU_DEP_2) | instskip(SKIP_1) | instid1(VALU_DEP_1)
	v_dual_max_num_f32 v8, v10, v10 :: v_dual_max_num_f32 v7, v7, v9
	s_or_b32 s0, vcc_lo, s0
	v_max_num_f32_e32 v8, v12, v8
	s_and_b32 s0, exec_lo, s0
	s_delay_alu instid0(SALU_CYCLE_1)
	s_or_b32 s9, s0, s9
	s_and_not1_b32 s8, s8, exec_lo
	s_and_b32 s11, vcc_lo, exec_lo
	s_mov_b32 s0, s1
	s_or_b32 s8, s8, s11
	s_and_not1_b32 exec_lo, exec_lo, s9
	s_cbranch_execnz .LBB0_4
; %bb.5:
	s_or_b32 exec_lo, exec_lo, s9
	v_dual_cndmask_b32 v5, v7, v5, s8 :: v_dual_cndmask_b32 v4, v8, v4, s8
	s_cmp_lg_u32 s3, s2
	s_cselect_b32 s0, -1, 0
	s_delay_alu instid0(VALU_DEP_1) | instskip(SKIP_2) | instid1(VALU_DEP_2)
	v_dual_max_num_f32 v5, v5, v5 :: v_dual_max_num_f32 v7, v4, v4
	v_cndmask_b32_e64 v4, s2, v6, s8
	s_or_b32 s1, s0, s8
	v_max_num_f32_e32 v8, v7, v5
	s_and_saveexec_b32 s0, s1
	s_cbranch_execnz .LBB0_7
	s_branch .LBB0_10
.LBB0_6:
	v_mov_b32_e32 v4, 0
	s_mov_b32 s1, -1
	s_wait_xcnt 0x0
	s_and_saveexec_b32 s0, s1
	s_cbranch_execz .LBB0_10
.LBB0_7:
	v_lshlrev_b64_e32 v[6:7], 2, v[2:3]
	v_ashrrev_i32_e32 v5, 31, v4
	s_mov_b32 s1, 0
	s_delay_alu instid0(VALU_DEP_1) | instskip(SKIP_1) | instid1(VALU_DEP_2)
	v_lshl_add_u64 v[6:7], v[4:5], 2, v[6:7]
	v_sub_nc_u32_e32 v4, s3, v4
	v_add_nc_u64_e32 v[6:7], s[4:5], v[6:7]
.LBB0_8:                                ; =>This Inner Loop Header: Depth=1
	global_load_b32 v5, v[6:7], off
	v_add_nc_u32_e32 v4, -1, v4
	s_wait_loadcnt 0x1
	v_max_num_f32_e32 v8, v8, v8
	s_wait_xcnt 0x0
	v_add_nc_u64_e32 v[6:7], 4, v[6:7]
	s_wait_loadcnt 0x0
	v_max_num_f32_e32 v5, v5, v5
	v_cmp_eq_u32_e32 vcc_lo, 0, v4
	s_delay_alu instid0(VALU_DEP_2) | instskip(SKIP_1) | instid1(SALU_CYCLE_1)
	v_max_num_f32_e32 v8, v8, v5
	s_or_b32 s1, vcc_lo, s1
	s_and_not1_b32 exec_lo, exec_lo, s1
	s_cbranch_execnz .LBB0_8
; %bb.9:
	s_or_b32 exec_lo, exec_lo, s1
.LBB0_10:
	s_delay_alu instid0(SALU_CYCLE_1)
	s_or_b32 exec_lo, exec_lo, s0
	v_mov_b64_e32 v[4:5], v[0:1]
	v_mov_b32_e32 v6, 0
	s_mov_b32 s0, s3
.LBB0_11:                               ; =>This Inner Loop Header: Depth=1
	global_load_b32 v7, v[4:5], off
	s_wait_xcnt 0x0
	v_add_nc_u64_e32 v[4:5], 4, v[4:5]
	s_add_co_i32 s0, s0, -1
	s_delay_alu instid0(SALU_CYCLE_1) | instskip(SKIP_2) | instid1(VALU_DEP_1)
	s_cmp_lg_u32 s0, 0
	s_wait_loadcnt 0x0
	v_sub_f32_e32 v7, v7, v8
	v_mul_f32_e32 v9, 0x3fb8aa3b, v7
	s_delay_alu instid0(VALU_DEP_1) | instskip(SKIP_1) | instid1(VALU_DEP_1)
	v_fma_f32 v10, 0x3fb8aa3b, v7, -v9
	v_rndne_f32_e32 v11, v9
	v_sub_f32_e32 v9, v9, v11
	v_cmp_ngt_f32_e32 vcc_lo, 0xc2ce8ed0, v7
	s_delay_alu instid0(VALU_DEP_4) | instskip(NEXT) | instid1(VALU_DEP_1)
	v_fmac_f32_e32 v10, 0x32a5705f, v7
	v_add_f32_e32 v9, v9, v10
	v_cvt_i32_f32_e32 v10, v11
	s_delay_alu instid0(VALU_DEP_2) | instskip(SKIP_1) | instid1(TRANS32_DEP_1)
	v_exp_f32_e32 v9, v9
	v_nop
	v_ldexp_f32 v9, v9, v10
	s_delay_alu instid0(VALU_DEP_1) | instskip(SKIP_1) | instid1(VALU_DEP_2)
	v_cndmask_b32_e32 v9, 0, v9, vcc_lo
	v_cmp_nlt_f32_e32 vcc_lo, 0x42b17218, v7
	v_cndmask_b32_e32 v7, 0x7f800000, v9, vcc_lo
	s_delay_alu instid0(VALU_DEP_1)
	v_add_f32_e32 v6, v6, v7
	s_cbranch_scc1 .LBB0_11
; %bb.12:
	v_lshl_add_u64 v[2:3], v[2:3], 2, s[6:7]
.LBB0_13:                               ; =>This Inner Loop Header: Depth=1
	global_load_b32 v4, v[0:1], off
	s_wait_xcnt 0x0
	v_add_nc_u64_e32 v[0:1], 4, v[0:1]
	s_add_co_i32 s3, s3, -1
	s_delay_alu instid0(SALU_CYCLE_1) | instskip(SKIP_2) | instid1(VALU_DEP_1)
	s_cmp_lg_u32 s3, 0
	s_wait_loadcnt 0x0
	v_sub_f32_e32 v4, v4, v8
	v_mul_f32_e32 v5, 0x3fb8aa3b, v4
	s_delay_alu instid0(VALU_DEP_1) | instskip(SKIP_1) | instid1(VALU_DEP_1)
	v_fma_f32 v7, 0x3fb8aa3b, v4, -v5
	v_rndne_f32_e32 v9, v5
	v_sub_f32_e32 v5, v5, v9
	s_delay_alu instid0(VALU_DEP_3) | instskip(SKIP_1) | instid1(VALU_DEP_2)
	v_fmac_f32_e32 v7, 0x32a5705f, v4
	v_cmp_ngt_f32_e32 vcc_lo, 0xc2ce8ed0, v4
	v_add_f32_e32 v5, v5, v7
	v_cvt_i32_f32_e32 v7, v9
	s_delay_alu instid0(VALU_DEP_2) | instskip(SKIP_1) | instid1(TRANS32_DEP_1)
	v_exp_f32_e32 v5, v5
	v_nop
	v_ldexp_f32 v5, v5, v7
	s_delay_alu instid0(VALU_DEP_1) | instskip(SKIP_1) | instid1(VALU_DEP_2)
	v_cndmask_b32_e32 v5, 0, v5, vcc_lo
	v_cmp_nlt_f32_e32 vcc_lo, 0x42b17218, v4
	v_cndmask_b32_e32 v4, 0x7f800000, v5, vcc_lo
	s_delay_alu instid0(VALU_DEP_1) | instskip(SKIP_1) | instid1(VALU_DEP_2)
	v_div_scale_f32 v5, null, v6, v6, v4
	v_div_scale_f32 v10, vcc_lo, v4, v6, v4
	v_rcp_f32_e32 v7, v5
	v_nop
	s_delay_alu instid0(TRANS32_DEP_1) | instskip(NEXT) | instid1(VALU_DEP_1)
	v_fma_f32 v9, -v5, v7, 1.0
	v_fmac_f32_e32 v7, v9, v7
	s_delay_alu instid0(VALU_DEP_1) | instskip(NEXT) | instid1(VALU_DEP_1)
	v_mul_f32_e32 v9, v10, v7
	v_fma_f32 v11, -v5, v9, v10
	s_delay_alu instid0(VALU_DEP_1) | instskip(NEXT) | instid1(VALU_DEP_1)
	v_fmac_f32_e32 v9, v11, v7
	v_fma_f32 v5, -v5, v9, v10
	s_delay_alu instid0(VALU_DEP_1) | instskip(NEXT) | instid1(VALU_DEP_1)
	v_div_fmas_f32 v5, v5, v7, v9
	v_div_fixup_f32 v4, v5, v6, v4
	global_store_b32 v[2:3], v4, off
	s_wait_xcnt 0x0
	v_add_nc_u64_e32 v[2:3], 4, v[2:3]
	s_cbranch_scc1 .LBB0_13
.LBB0_14:
	s_endpgm
	.section	.rodata,"a",@progbits
	.p2align	6, 0x0
	.amdhsa_kernel _Z7softMaxiiPKfPf
		.amdhsa_group_segment_fixed_size 0
		.amdhsa_private_segment_fixed_size 0
		.amdhsa_kernarg_size 280
		.amdhsa_user_sgpr_count 2
		.amdhsa_user_sgpr_dispatch_ptr 0
		.amdhsa_user_sgpr_queue_ptr 0
		.amdhsa_user_sgpr_kernarg_segment_ptr 1
		.amdhsa_user_sgpr_dispatch_id 0
		.amdhsa_user_sgpr_kernarg_preload_length 0
		.amdhsa_user_sgpr_kernarg_preload_offset 0
		.amdhsa_user_sgpr_private_segment_size 0
		.amdhsa_wavefront_size32 1
		.amdhsa_uses_dynamic_stack 0
		.amdhsa_enable_private_segment 0
		.amdhsa_system_sgpr_workgroup_id_x 1
		.amdhsa_system_sgpr_workgroup_id_y 0
		.amdhsa_system_sgpr_workgroup_id_z 0
		.amdhsa_system_sgpr_workgroup_info 0
		.amdhsa_system_vgpr_workitem_id 0
		.amdhsa_next_free_vgpr 13
		.amdhsa_next_free_sgpr 12
		.amdhsa_named_barrier_count 0
		.amdhsa_reserve_vcc 1
		.amdhsa_float_round_mode_32 0
		.amdhsa_float_round_mode_16_64 0
		.amdhsa_float_denorm_mode_32 3
		.amdhsa_float_denorm_mode_16_64 3
		.amdhsa_fp16_overflow 0
		.amdhsa_memory_ordered 1
		.amdhsa_forward_progress 1
		.amdhsa_inst_pref_size 8
		.amdhsa_round_robin_scheduling 0
		.amdhsa_exception_fp_ieee_invalid_op 0
		.amdhsa_exception_fp_denorm_src 0
		.amdhsa_exception_fp_ieee_div_zero 0
		.amdhsa_exception_fp_ieee_overflow 0
		.amdhsa_exception_fp_ieee_underflow 0
		.amdhsa_exception_fp_ieee_inexact 0
		.amdhsa_exception_int_div_zero 0
	.end_amdhsa_kernel
	.text
.Lfunc_end0:
	.size	_Z7softMaxiiPKfPf, .Lfunc_end0-_Z7softMaxiiPKfPf
                                        ; -- End function
	.set _Z7softMaxiiPKfPf.num_vgpr, 13
	.set _Z7softMaxiiPKfPf.num_agpr, 0
	.set _Z7softMaxiiPKfPf.numbered_sgpr, 12
	.set _Z7softMaxiiPKfPf.num_named_barrier, 0
	.set _Z7softMaxiiPKfPf.private_seg_size, 0
	.set _Z7softMaxiiPKfPf.uses_vcc, 1
	.set _Z7softMaxiiPKfPf.uses_flat_scratch, 0
	.set _Z7softMaxiiPKfPf.has_dyn_sized_stack, 0
	.set _Z7softMaxiiPKfPf.has_recursion, 0
	.set _Z7softMaxiiPKfPf.has_indirect_call, 0
	.section	.AMDGPU.csdata,"",@progbits
; Kernel info:
; codeLenInByte = 1008
; TotalNumSgprs: 14
; NumVgprs: 13
; ScratchSize: 0
; MemoryBound: 0
; FloatMode: 240
; IeeeMode: 1
; LDSByteSize: 0 bytes/workgroup (compile time only)
; SGPRBlocks: 0
; VGPRBlocks: 0
; NumSGPRsForWavesPerEU: 14
; NumVGPRsForWavesPerEU: 13
; NamedBarCnt: 0
; Occupancy: 16
; WaveLimiterHint : 0
; COMPUTE_PGM_RSRC2:SCRATCH_EN: 0
; COMPUTE_PGM_RSRC2:USER_SGPR: 2
; COMPUTE_PGM_RSRC2:TRAP_HANDLER: 0
; COMPUTE_PGM_RSRC2:TGID_X_EN: 1
; COMPUTE_PGM_RSRC2:TGID_Y_EN: 0
; COMPUTE_PGM_RSRC2:TGID_Z_EN: 0
; COMPUTE_PGM_RSRC2:TIDIG_COMP_CNT: 0
	.text
	.protected	_Z8softMax2iiPKfPf      ; -- Begin function _Z8softMax2iiPKfPf
	.globl	_Z8softMax2iiPKfPf
	.p2align	8
	.type	_Z8softMax2iiPKfPf,@function
_Z8softMax2iiPKfPf:                     ; @_Z8softMax2iiPKfPf
; %bb.0:
	s_clause 0x1
	s_load_b64 s[8:9], s[0:1], 0x24
	s_load_b64 s[2:3], s[0:1], 0x0
	v_bfe_u32 v1, v0, 10, 10
	v_bfe_u32 v2, v0, 20, 10
	v_and_b32_e32 v8, 0x3ff, v0
	s_bfe_u32 s7, ttmp6, 0x4000c
	s_and_b32 s6, ttmp6, 15
	s_add_co_i32 s7, s7, 1
	s_delay_alu instid0(SALU_CYCLE_1) | instskip(NEXT) | instid1(SALU_CYCLE_1)
	s_mul_i32 s7, ttmp9, s7
	s_add_co_i32 s6, s6, s7
	s_wait_kmcnt 0x0
	s_lshr_b32 s4, s8, 16
	s_and_b32 s5, s8, 0xffff
	v_mad_u32_u24 v9, v2, s4, v1
	s_and_b32 s9, s9, 0xffff
	s_mul_i32 s4, s4, s5
	s_delay_alu instid0(SALU_CYCLE_1) | instskip(NEXT) | instid1(VALU_DEP_1)
	s_mul_i32 s4, s4, s9
	v_mad_u32 v0, v9, s5, v8
	s_add_co_i32 s4, s4, 31
	s_getreg_b32 s5, hwreg(HW_REG_IB_STS2, 6, 4)
	s_lshr_b32 s4, s4, 5
	s_cmp_eq_u32 s5, 0
	s_cselect_b32 s5, ttmp9, s6
	s_delay_alu instid0(VALU_DEP_1) | instskip(NEXT) | instid1(VALU_DEP_1)
	v_lshrrev_b32_e32 v1, 5, v0
	v_mad_u32 v1, s4, s5, v1
	s_delay_alu instid0(VALU_DEP_1)
	v_cmp_gt_i32_e32 vcc_lo, s2, v1
	s_and_saveexec_b32 s2, vcc_lo
	s_cbranch_execz .LBB1_18
; %bb.1:
	s_load_b128 s[4:7], s[0:1], 0x8
	v_mul_lo_u32 v2, v1, s3
	s_delay_alu instid0(VALU_DEP_1) | instskip(NEXT) | instid1(VALU_DEP_1)
	v_dual_ashrrev_i32 v3, 31, v2 :: v_dual_bitop2_b32 v0, 31, v0 bitop3:0x40
	v_cmp_gt_i32_e32 vcc_lo, s3, v0
	s_wait_kmcnt 0x0
	global_load_b32 v10, v2, s[4:5] scale_offset
	s_wait_xcnt 0x0
	s_and_saveexec_b32 s2, vcc_lo
	s_cbranch_execz .LBB1_11
; %bb.2:
	v_xad_u32 v1, v0, -1, s3
	v_mov_b32_e32 v4, v0
	s_mov_b32 s10, -1
	s_mov_b32 s9, exec_lo
	s_delay_alu instid0(VALU_DEP_2)
	v_cmpx_lt_u32_e32 31, v1
	s_cbranch_execz .LBB1_6
; %bb.3:
	v_dual_lshrrev_b32 v4, 5, v1 :: v_dual_bitop2_b32 v1, 32, v0 bitop3:0x54
	s_wait_loadcnt 0x0
	v_dual_mov_b32 v5, v2 :: v_dual_mov_b32 v14, v10
	s_mov_b32 s12, 2
	s_delay_alu instid0(VALU_DEP_2) | instskip(SKIP_2) | instid1(VALU_DEP_2)
	v_dual_mov_b32 v4, v2 :: v_dual_add_nc_u32 v11, 1, v4
	v_mov_b64_e32 v[6:7], v[0:1]
	s_mov_b32 s11, 0
                                        ; implicit-def: $sgpr10
	v_and_b32_e32 v1, 0xffffffe, v11
.LBB1_4:                                ; =>This Inner Loop Header: Depth=1
	s_delay_alu instid0(VALU_DEP_2) | instskip(NEXT) | instid1(VALU_DEP_2)
	v_dual_add_nc_u32 v12, v7, v5 :: v_dual_add_nc_u32 v13, v6, v4
	v_cmp_eq_u32_e64 s0, s12, v1
	s_add_co_i32 s12, s12, 2
	v_dual_add_nc_u32 v7, 64, v7 :: v_dual_add_nc_u32 v6, 64, v6
	s_clause 0x1
	global_load_b32 v16, v12, s[4:5] scale_offset
	global_load_b32 v17, v13, s[4:5] scale_offset
	s_wait_xcnt 0x0
	v_dual_mov_b32 v12, v10 :: v_dual_mov_b32 v13, v14
	s_delay_alu instid0(VALU_DEP_1) | instskip(NEXT) | instid1(VALU_DEP_2)
	v_dual_mov_b32 v15, s12 :: v_dual_max_num_f32 v19, v12, v12
	v_max_num_f32_e32 v10, v13, v13
	s_wait_loadcnt 0x1
	v_cmp_u_f32_e64 s1, v16, v16
	s_delay_alu instid0(VALU_DEP_1) | instskip(SKIP_3) | instid1(VALU_DEP_3)
	v_cndmask_b32_e64 v14, 0, 1, s1
	s_wait_loadcnt 0x0
	v_cmp_u_f32_e64 s1, v17, v17
	v_dual_max_num_f32 v17, v17, v17 :: v_dual_max_num_f32 v16, v16, v16
	v_lshlrev_b16 v14, 1, v14
	s_delay_alu instid0(VALU_DEP_3) | instskip(NEXT) | instid1(VALU_DEP_1)
	v_cndmask_b32_e64 v18, 0, 1, s1
	v_bitop3_b16 v14, v18, 3, v14 bitop3:0xc8
	s_delay_alu instid0(VALU_DEP_1) | instskip(SKIP_2) | instid1(SALU_CYCLE_1)
	v_cmp_ne_u16_e64 s1, 0, v14
	v_dual_max_num_f32 v14, v10, v16 :: v_dual_max_num_f32 v10, v19, v17
	s_or_b32 s0, s1, s0
	s_and_b32 s0, exec_lo, s0
	s_delay_alu instid0(SALU_CYCLE_1) | instskip(SKIP_2) | instid1(SALU_CYCLE_1)
	s_or_b32 s11, s0, s11
	s_and_not1_b32 s0, s10, exec_lo
	s_and_b32 s1, s1, exec_lo
	s_or_b32 s10, s0, s1
	s_and_not1_b32 exec_lo, exec_lo, s11
	s_cbranch_execnz .LBB1_4
; %bb.5:
	s_or_b32 exec_lo, exec_lo, s11
	v_dual_cndmask_b32 v4, v14, v13, s10 :: v_dual_add_nc_u32 v6, -4, v15
	v_cndmask_b32_e64 v5, v10, v12, s10
	v_cmp_ne_u32_e64 s0, v11, v1
	s_delay_alu instid0(VALU_DEP_3) | instskip(NEXT) | instid1(VALU_DEP_3)
	v_dual_cndmask_b32 v6, v1, v6, s10 :: v_dual_max_num_f32 v4, v4, v4
	v_max_num_f32_e32 v5, v5, v5
	s_or_b32 s0, s0, s10
	s_delay_alu instid0(SALU_CYCLE_1) | instskip(NEXT) | instid1(VALU_DEP_1)
	s_or_not1_b32 s10, s0, exec_lo
	v_max_num_f32_e32 v10, v5, v4
	v_lshl_or_b32 v4, v6, 5, v0
.LBB1_6:
	s_or_b32 exec_lo, exec_lo, s9
	s_and_saveexec_b32 s1, s10
	s_cbranch_execz .LBB1_10
; %bb.7:
	v_lshlrev_b64_e32 v[6:7], 2, v[2:3]
	v_ashrrev_i32_e32 v5, 31, v4
	s_mov_b32 s9, 0
	s_delay_alu instid0(VALU_DEP_1) | instskip(NEXT) | instid1(VALU_DEP_1)
	v_lshl_add_u64 v[6:7], v[4:5], 2, v[6:7]
	v_add_nc_u64_e32 v[6:7], s[4:5], v[6:7]
.LBB1_8:                                ; =>This Inner Loop Header: Depth=1
	global_load_b32 v1, v[6:7], off
	s_wait_loadcnt 0x1
	v_dual_max_num_f32 v5, v10, v10 :: v_dual_add_nc_u32 v4, 32, v4
	s_wait_xcnt 0x0
	v_add_nc_u64_e32 v[6:7], 0x80, v[6:7]
	s_delay_alu instid0(VALU_DEP_2) | instskip(SKIP_3) | instid1(VALU_DEP_1)
	v_cmp_le_i32_e64 s0, s3, v4
	s_or_b32 s9, s0, s9
	s_wait_loadcnt 0x0
	v_max_num_f32_e32 v1, v1, v1
	v_max_num_f32_e32 v10, v5, v1
	s_and_not1_b32 exec_lo, exec_lo, s9
	s_cbranch_execnz .LBB1_8
; %bb.9:
	s_or_b32 exec_lo, exec_lo, s9
.LBB1_10:
	s_delay_alu instid0(SALU_CYCLE_1)
	s_or_b32 exec_lo, exec_lo, s1
.LBB1_11:
	s_delay_alu instid0(SALU_CYCLE_1) | instskip(SKIP_4) | instid1(VALU_DEP_2)
	s_or_b32 exec_lo, exec_lo, s2
	v_mbcnt_lo_u32_b32 v1, -1, 0
	v_mad_u16 v8, s8, v9, v8
	s_mov_b32 s2, 0
	s_wait_loadcnt 0x0
	v_dual_max_num_f32 v6, v10, v10 :: v_dual_bitop2_b32 v4, 16, v1 bitop3:0x14
	v_xor_b32_e32 v5, 8, v1
	s_delay_alu instid0(VALU_DEP_2) | instskip(NEXT) | instid1(VALU_DEP_1)
	v_cmp_gt_i32_e64 s0, 32, v4
	v_cndmask_b32_e64 v4, v1, v4, s0
	s_delay_alu instid0(VALU_DEP_3) | instskip(NEXT) | instid1(VALU_DEP_1)
	v_cmp_gt_i32_e64 s0, 32, v5
	v_dual_lshlrev_b32 v11, 2, v4 :: v_dual_cndmask_b32 v5, v1, v5, s0
	ds_bpermute_b32 v4, v11, v10
	s_wait_dscnt 0x0
	v_dual_lshlrev_b32 v10, 2, v5 :: v_dual_max_num_f32 v4, v4, v4
	s_delay_alu instid0(VALU_DEP_1) | instskip(SKIP_4) | instid1(VALU_DEP_1)
	v_dual_max_num_f32 v4, v6, v4 :: v_dual_bitop2_b32 v6, 4, v1 bitop3:0x14
	ds_bpermute_b32 v5, v10, v4
	v_cmp_gt_i32_e64 s0, 32, v6
	s_wait_dscnt 0x0
	v_max_num_f32_e32 v5, v5, v5
	v_dual_cndmask_b32 v6, v1, v6, s0 :: v_dual_max_num_f32 v4, v4, v5
	s_delay_alu instid0(VALU_DEP_1) | instskip(SKIP_4) | instid1(VALU_DEP_1)
	v_dual_lshlrev_b32 v12, 2, v6 :: v_dual_bitop2_b32 v6, 2, v1 bitop3:0x14
	ds_bpermute_b32 v5, v12, v4
	v_cmp_gt_i32_e64 s0, 32, v6
	s_wait_dscnt 0x0
	v_max_num_f32_e32 v5, v5, v5
	v_dual_cndmask_b32 v6, v1, v6, s0 :: v_dual_max_num_f32 v4, v4, v5
	s_delay_alu instid0(VALU_DEP_1) | instskip(SKIP_2) | instid1(VALU_DEP_1)
	v_dual_lshlrev_b32 v13, 2, v6 :: v_dual_bitop2_b32 v6, 1, v1 bitop3:0x14
	ds_bpermute_b32 v5, v13, v4
	v_cmp_gt_i32_e64 s0, 32, v6
	v_cndmask_b32_e64 v1, v1, v6, s0
	s_delay_alu instid0(VALU_DEP_1) | instskip(SKIP_2) | instid1(VALU_DEP_1)
	v_lshlrev_b32_e32 v14, 2, v1
	s_wait_dscnt 0x0
	v_max_num_f32_e32 v5, v5, v5
	v_dual_max_num_f32 v1, v4, v5 :: v_dual_mov_b32 v5, 0
	ds_bpermute_b32 v4, v14, v1
	s_wait_dscnt 0x0
	v_max_num_f32_e32 v4, v4, v4
	s_delay_alu instid0(VALU_DEP_1)
	v_max_num_f32_e32 v1, v1, v4
	s_and_saveexec_b32 s1, vcc_lo
	s_cbranch_execz .LBB1_15
; %bb.12:
	v_dual_mov_b32 v5, 0 :: v_dual_bitop2_b32 v4, 31, v8 bitop3:0x40
	s_delay_alu instid0(VALU_DEP_1) | instskip(NEXT) | instid1(VALU_DEP_1)
	v_lshlrev_b32_e32 v4, 2, v4
	v_lshl_add_u64 v[6:7], v[2:3], 2, v[4:5]
	v_mov_b32_e32 v4, v0
	s_delay_alu instid0(VALU_DEP_2)
	v_add_nc_u64_e32 v[6:7], s[4:5], v[6:7]
.LBB1_13:                               ; =>This Inner Loop Header: Depth=1
	global_load_b32 v9, v[6:7], off
	s_wait_xcnt 0x0
	v_add_nc_u64_e32 v[6:7], 0x80, v[6:7]
	s_wait_loadcnt 0x0
	v_dual_sub_f32 v9, v9, v1 :: v_dual_add_nc_u32 v4, 32, v4
	s_delay_alu instid0(VALU_DEP_1) | instskip(NEXT) | instid1(VALU_DEP_1)
	v_mul_f32_e32 v15, 0x3fb8aa3b, v9
	v_fma_f32 v16, 0x3fb8aa3b, v9, -v15
	v_rndne_f32_e32 v17, v15
	s_delay_alu instid0(VALU_DEP_2) | instskip(NEXT) | instid1(VALU_DEP_2)
	v_fmac_f32_e32 v16, 0x32a5705f, v9
	v_sub_f32_e32 v15, v15, v17
	s_delay_alu instid0(VALU_DEP_1) | instskip(SKIP_2) | instid1(VALU_DEP_3)
	v_add_f32_e32 v15, v15, v16
	v_cvt_i32_f32_e32 v16, v17
	v_cmp_ngt_f32_e64 s0, 0xc2ce8ed0, v9
	v_exp_f32_e32 v15, v15
	v_nop
	s_delay_alu instid0(TRANS32_DEP_1) | instskip(NEXT) | instid1(VALU_DEP_1)
	v_ldexp_f32 v15, v15, v16
	v_cndmask_b32_e64 v15, 0, v15, s0
	v_cmp_nlt_f32_e64 s0, 0x42b17218, v9
	s_delay_alu instid0(VALU_DEP_1) | instskip(SKIP_1) | instid1(VALU_DEP_2)
	v_cndmask_b32_e64 v9, 0x7f800000, v15, s0
	v_cmp_le_i32_e64 s0, s3, v4
	v_add_f32_e32 v5, v5, v9
	s_or_b32 s2, s0, s2
	s_delay_alu instid0(SALU_CYCLE_1)
	s_and_not1_b32 exec_lo, exec_lo, s2
	s_cbranch_execnz .LBB1_13
; %bb.14:
	s_or_b32 exec_lo, exec_lo, s2
.LBB1_15:
	s_delay_alu instid0(SALU_CYCLE_1)
	s_or_b32 exec_lo, exec_lo, s1
	ds_bpermute_b32 v4, v11, v5
	s_wait_dscnt 0x0
	v_add_f32_e32 v4, v5, v4
	ds_bpermute_b32 v5, v10, v4
	s_wait_dscnt 0x0
	v_add_f32_e32 v4, v4, v5
	;; [unrolled: 3-line block ×4, first 2 shown]
	ds_bpermute_b32 v5, v14, v4
	s_and_b32 exec_lo, exec_lo, vcc_lo
	s_cbranch_execz .LBB1_18
; %bb.16:
	v_dual_mov_b32 v7, 0 :: v_dual_bitop2_b32 v6, 31, v8 bitop3:0x40
	s_mov_b32 s0, 0
	s_delay_alu instid0(VALU_DEP_1) | instskip(NEXT) | instid1(VALU_DEP_1)
	v_dual_add_nc_u32 v8, v2, v0 :: v_dual_lshlrev_b32 v6, 2, v6
	v_ashrrev_i32_e32 v9, 31, v8
	s_delay_alu instid0(VALU_DEP_2) | instskip(SKIP_2) | instid1(VALU_DEP_3)
	v_lshl_add_u64 v[2:3], v[2:3], 2, v[6:7]
	s_wait_dscnt 0x0
	v_add_f32_e32 v6, v4, v5
	v_lshl_add_u64 v[4:5], v[8:9], 2, s[6:7]
	s_delay_alu instid0(VALU_DEP_3)
	v_add_nc_u64_e32 v[2:3], s[4:5], v[2:3]
.LBB1_17:                               ; =>This Inner Loop Header: Depth=1
	global_load_b32 v7, v[2:3], off
	v_add_nc_u32_e32 v0, 32, v0
	s_wait_xcnt 0x0
	v_add_nc_u64_e32 v[2:3], 0x80, v[2:3]
	s_wait_loadcnt 0x0
	v_sub_f32_e32 v7, v7, v1
	s_delay_alu instid0(VALU_DEP_1) | instskip(NEXT) | instid1(VALU_DEP_1)
	v_mul_f32_e32 v8, 0x3fb8aa3b, v7
	v_fma_f32 v9, 0x3fb8aa3b, v7, -v8
	v_rndne_f32_e32 v10, v8
	s_delay_alu instid0(VALU_DEP_1) | instskip(SKIP_1) | instid1(VALU_DEP_4)
	v_sub_f32_e32 v8, v8, v10
	v_cmp_ngt_f32_e32 vcc_lo, 0xc2ce8ed0, v7
	v_fmac_f32_e32 v9, 0x32a5705f, v7
	s_delay_alu instid0(VALU_DEP_1) | instskip(SKIP_1) | instid1(VALU_DEP_2)
	v_add_f32_e32 v8, v8, v9
	v_cvt_i32_f32_e32 v9, v10
	v_exp_f32_e32 v8, v8
	v_nop
	s_delay_alu instid0(TRANS32_DEP_1) | instskip(NEXT) | instid1(VALU_DEP_1)
	v_ldexp_f32 v8, v8, v9
	v_cndmask_b32_e32 v8, 0, v8, vcc_lo
	v_cmp_nlt_f32_e32 vcc_lo, 0x42b17218, v7
	s_delay_alu instid0(VALU_DEP_2) | instskip(NEXT) | instid1(VALU_DEP_1)
	v_cndmask_b32_e32 v7, 0x7f800000, v8, vcc_lo
	v_div_scale_f32 v8, null, v6, v6, v7
	v_div_scale_f32 v11, vcc_lo, v7, v6, v7
	s_delay_alu instid0(VALU_DEP_2) | instskip(SKIP_1) | instid1(TRANS32_DEP_1)
	v_rcp_f32_e32 v9, v8
	v_nop
	v_fma_f32 v10, -v8, v9, 1.0
	s_delay_alu instid0(VALU_DEP_1) | instskip(NEXT) | instid1(VALU_DEP_1)
	v_fmac_f32_e32 v9, v10, v9
	v_mul_f32_e32 v10, v11, v9
	s_delay_alu instid0(VALU_DEP_1) | instskip(NEXT) | instid1(VALU_DEP_1)
	v_fma_f32 v12, -v8, v10, v11
	v_fmac_f32_e32 v10, v12, v9
	s_delay_alu instid0(VALU_DEP_1) | instskip(NEXT) | instid1(VALU_DEP_1)
	v_fma_f32 v8, -v8, v10, v11
	v_div_fmas_f32 v8, v8, v9, v10
	v_cmp_le_i32_e32 vcc_lo, s3, v0
	s_delay_alu instid0(VALU_DEP_2)
	v_div_fixup_f32 v7, v8, v6, v7
	s_or_b32 s0, vcc_lo, s0
	global_store_b32 v[4:5], v7, off
	s_wait_xcnt 0x0
	v_add_nc_u64_e32 v[4:5], 0x80, v[4:5]
	s_and_not1_b32 exec_lo, exec_lo, s0
	s_cbranch_execnz .LBB1_17
.LBB1_18:
	s_endpgm
	.section	.rodata,"a",@progbits
	.p2align	6, 0x0
	.amdhsa_kernel _Z8softMax2iiPKfPf
		.amdhsa_group_segment_fixed_size 0
		.amdhsa_private_segment_fixed_size 0
		.amdhsa_kernarg_size 280
		.amdhsa_user_sgpr_count 2
		.amdhsa_user_sgpr_dispatch_ptr 0
		.amdhsa_user_sgpr_queue_ptr 0
		.amdhsa_user_sgpr_kernarg_segment_ptr 1
		.amdhsa_user_sgpr_dispatch_id 0
		.amdhsa_user_sgpr_kernarg_preload_length 0
		.amdhsa_user_sgpr_kernarg_preload_offset 0
		.amdhsa_user_sgpr_private_segment_size 0
		.amdhsa_wavefront_size32 1
		.amdhsa_uses_dynamic_stack 0
		.amdhsa_enable_private_segment 0
		.amdhsa_system_sgpr_workgroup_id_x 1
		.amdhsa_system_sgpr_workgroup_id_y 0
		.amdhsa_system_sgpr_workgroup_id_z 0
		.amdhsa_system_sgpr_workgroup_info 0
		.amdhsa_system_vgpr_workitem_id 2
		.amdhsa_next_free_vgpr 20
		.amdhsa_next_free_sgpr 13
		.amdhsa_named_barrier_count 0
		.amdhsa_reserve_vcc 1
		.amdhsa_float_round_mode_32 0
		.amdhsa_float_round_mode_16_64 0
		.amdhsa_float_denorm_mode_32 3
		.amdhsa_float_denorm_mode_16_64 3
		.amdhsa_fp16_overflow 0
		.amdhsa_memory_ordered 1
		.amdhsa_forward_progress 1
		.amdhsa_inst_pref_size 14
		.amdhsa_round_robin_scheduling 0
		.amdhsa_exception_fp_ieee_invalid_op 0
		.amdhsa_exception_fp_denorm_src 0
		.amdhsa_exception_fp_ieee_div_zero 0
		.amdhsa_exception_fp_ieee_overflow 0
		.amdhsa_exception_fp_ieee_underflow 0
		.amdhsa_exception_fp_ieee_inexact 0
		.amdhsa_exception_int_div_zero 0
	.end_amdhsa_kernel
	.text
.Lfunc_end1:
	.size	_Z8softMax2iiPKfPf, .Lfunc_end1-_Z8softMax2iiPKfPf
                                        ; -- End function
	.set _Z8softMax2iiPKfPf.num_vgpr, 20
	.set _Z8softMax2iiPKfPf.num_agpr, 0
	.set _Z8softMax2iiPKfPf.numbered_sgpr, 13
	.set _Z8softMax2iiPKfPf.num_named_barrier, 0
	.set _Z8softMax2iiPKfPf.private_seg_size, 0
	.set _Z8softMax2iiPKfPf.uses_vcc, 1
	.set _Z8softMax2iiPKfPf.uses_flat_scratch, 0
	.set _Z8softMax2iiPKfPf.has_dyn_sized_stack, 0
	.set _Z8softMax2iiPKfPf.has_recursion, 0
	.set _Z8softMax2iiPKfPf.has_indirect_call, 0
	.section	.AMDGPU.csdata,"",@progbits
; Kernel info:
; codeLenInByte = 1756
; TotalNumSgprs: 15
; NumVgprs: 20
; ScratchSize: 0
; MemoryBound: 0
; FloatMode: 240
; IeeeMode: 1
; LDSByteSize: 0 bytes/workgroup (compile time only)
; SGPRBlocks: 0
; VGPRBlocks: 1
; NumSGPRsForWavesPerEU: 15
; NumVGPRsForWavesPerEU: 20
; NamedBarCnt: 0
; Occupancy: 16
; WaveLimiterHint : 0
; COMPUTE_PGM_RSRC2:SCRATCH_EN: 0
; COMPUTE_PGM_RSRC2:USER_SGPR: 2
; COMPUTE_PGM_RSRC2:TRAP_HANDLER: 0
; COMPUTE_PGM_RSRC2:TGID_X_EN: 1
; COMPUTE_PGM_RSRC2:TGID_Y_EN: 0
; COMPUTE_PGM_RSRC2:TGID_Z_EN: 0
; COMPUTE_PGM_RSRC2:TIDIG_COMP_CNT: 2
	.text
	.p2alignl 7, 3214868480
	.fill 96, 4, 3214868480
	.section	.AMDGPU.gpr_maximums,"",@progbits
	.set amdgpu.max_num_vgpr, 0
	.set amdgpu.max_num_agpr, 0
	.set amdgpu.max_num_sgpr, 0
	.text
	.type	__hip_cuid_5735c1f2825fb7e4,@object ; @__hip_cuid_5735c1f2825fb7e4
	.section	.bss,"aw",@nobits
	.globl	__hip_cuid_5735c1f2825fb7e4
__hip_cuid_5735c1f2825fb7e4:
	.byte	0                               ; 0x0
	.size	__hip_cuid_5735c1f2825fb7e4, 1

	.ident	"AMD clang version 22.0.0git (https://github.com/RadeonOpenCompute/llvm-project roc-7.2.4 26084 f58b06dce1f9c15707c5f808fd002e18c2accf7e)"
	.section	".note.GNU-stack","",@progbits
	.addrsig
	.addrsig_sym __hip_cuid_5735c1f2825fb7e4
	.amdgpu_metadata
---
amdhsa.kernels:
  - .args:
      - .offset:         0
        .size:           4
        .value_kind:     by_value
      - .offset:         4
        .size:           4
        .value_kind:     by_value
      - .address_space:  global
        .offset:         8
        .size:           8
        .value_kind:     global_buffer
      - .address_space:  global
        .offset:         16
        .size:           8
        .value_kind:     global_buffer
      - .offset:         24
        .size:           4
        .value_kind:     hidden_block_count_x
      - .offset:         28
        .size:           4
        .value_kind:     hidden_block_count_y
      - .offset:         32
        .size:           4
        .value_kind:     hidden_block_count_z
      - .offset:         36
        .size:           2
        .value_kind:     hidden_group_size_x
      - .offset:         38
        .size:           2
        .value_kind:     hidden_group_size_y
      - .offset:         40
        .size:           2
        .value_kind:     hidden_group_size_z
      - .offset:         42
        .size:           2
        .value_kind:     hidden_remainder_x
      - .offset:         44
        .size:           2
        .value_kind:     hidden_remainder_y
      - .offset:         46
        .size:           2
        .value_kind:     hidden_remainder_z
      - .offset:         64
        .size:           8
        .value_kind:     hidden_global_offset_x
      - .offset:         72
        .size:           8
        .value_kind:     hidden_global_offset_y
      - .offset:         80
        .size:           8
        .value_kind:     hidden_global_offset_z
      - .offset:         88
        .size:           2
        .value_kind:     hidden_grid_dims
    .group_segment_fixed_size: 0
    .kernarg_segment_align: 8
    .kernarg_segment_size: 280
    .language:       OpenCL C
    .language_version:
      - 2
      - 0
    .max_flat_workgroup_size: 1024
    .name:           _Z7softMaxiiPKfPf
    .private_segment_fixed_size: 0
    .sgpr_count:     14
    .sgpr_spill_count: 0
    .symbol:         _Z7softMaxiiPKfPf.kd
    .uniform_work_group_size: 1
    .uses_dynamic_stack: false
    .vgpr_count:     13
    .vgpr_spill_count: 0
    .wavefront_size: 32
  - .args:
      - .offset:         0
        .size:           4
        .value_kind:     by_value
      - .offset:         4
        .size:           4
        .value_kind:     by_value
      - .address_space:  global
        .offset:         8
        .size:           8
        .value_kind:     global_buffer
      - .address_space:  global
        .offset:         16
        .size:           8
        .value_kind:     global_buffer
      - .offset:         24
        .size:           4
        .value_kind:     hidden_block_count_x
      - .offset:         28
        .size:           4
        .value_kind:     hidden_block_count_y
      - .offset:         32
        .size:           4
        .value_kind:     hidden_block_count_z
      - .offset:         36
        .size:           2
        .value_kind:     hidden_group_size_x
      - .offset:         38
        .size:           2
        .value_kind:     hidden_group_size_y
      - .offset:         40
        .size:           2
        .value_kind:     hidden_group_size_z
      - .offset:         42
        .size:           2
        .value_kind:     hidden_remainder_x
      - .offset:         44
        .size:           2
        .value_kind:     hidden_remainder_y
      - .offset:         46
        .size:           2
        .value_kind:     hidden_remainder_z
      - .offset:         64
        .size:           8
        .value_kind:     hidden_global_offset_x
      - .offset:         72
        .size:           8
        .value_kind:     hidden_global_offset_y
      - .offset:         80
        .size:           8
        .value_kind:     hidden_global_offset_z
      - .offset:         88
        .size:           2
        .value_kind:     hidden_grid_dims
    .group_segment_fixed_size: 0
    .kernarg_segment_align: 8
    .kernarg_segment_size: 280
    .language:       OpenCL C
    .language_version:
      - 2
      - 0
    .max_flat_workgroup_size: 1024
    .name:           _Z8softMax2iiPKfPf
    .private_segment_fixed_size: 0
    .sgpr_count:     15
    .sgpr_spill_count: 0
    .symbol:         _Z8softMax2iiPKfPf.kd
    .uniform_work_group_size: 1
    .uses_dynamic_stack: false
    .vgpr_count:     20
    .vgpr_spill_count: 0
    .wavefront_size: 32
amdhsa.target:   amdgcn-amd-amdhsa--gfx1250
amdhsa.version:
  - 1
  - 2
...

	.end_amdgpu_metadata
